;; amdgpu-corpus repo=zjin-lcf/HeCBench kind=compiled arch=gfx1250 opt=O3
	.amdgcn_target "amdgcn-amd-amdhsa--gfx1250"
	.amdhsa_code_object_version 6
	.text
	.protected	_Z14rainflow_countPKdPKiPdPiP15HIP_vector_typeIdLj3EES4_i ; -- Begin function _Z14rainflow_countPKdPKiPdPiP15HIP_vector_typeIdLj3EES4_i
	.globl	_Z14rainflow_countPKdPKiPdPiP15HIP_vector_typeIdLj3EES4_i
	.p2align	8
	.type	_Z14rainflow_countPKdPKiPdPiP15HIP_vector_typeIdLj3EES4_i,@function
_Z14rainflow_countPKdPKiPdPiP15HIP_vector_typeIdLj3EES4_i: ; @_Z14rainflow_countPKdPKiPdPiP15HIP_vector_typeIdLj3EES4_i
; %bb.0:
	s_clause 0x1
	s_load_b32 s2, s[0:1], 0x44
	s_load_b32 s3, s[0:1], 0x30
	s_bfe_u32 s4, ttmp6, 0x4000c
	s_and_b32 s5, ttmp6, 15
	s_add_co_i32 s4, s4, 1
	s_getreg_b32 s6, hwreg(HW_REG_IB_STS2, 6, 4)
	s_mul_i32 s4, ttmp9, s4
	s_delay_alu instid0(SALU_CYCLE_1) | instskip(SKIP_4) | instid1(SALU_CYCLE_1)
	s_add_co_i32 s5, s5, s4
	s_wait_kmcnt 0x0
	s_and_b32 s2, s2, 0xffff
	s_cmp_eq_u32 s6, 0
	s_cselect_b32 s4, ttmp9, s5
	v_mad_u32 v4, s4, s2, v0
	s_mov_b32 s2, exec_lo
	s_delay_alu instid0(VALU_DEP_1)
	v_cmpx_gt_i32_e64 s3, v4
	s_cbranch_execz .LBB0_32
; %bb.1:
	s_clause 0x1
	s_load_b128 s[8:11], s[0:1], 0x0
	s_load_b64 s[2:3], s[0:1], 0x10
	v_dual_mov_b32 v10, 0 :: v_dual_ashrrev_i32 v5, 31, v4
	s_wait_kmcnt 0x0
	s_delay_alu instid0(VALU_DEP_1)
	v_lshl_add_u64 v[0:1], v[4:5], 2, s[10:11]
	global_load_b64 v[2:3], v[0:1], off
	s_wait_loadcnt 0x0
	global_load_b64 v[12:13], v2, s[8:9] scale_offset
	v_dual_mov_b32 v8, v2 :: v_dual_ashrrev_i32 v9, 31, v2
	v_sub_nc_u32_e32 v18, v3, v2
	s_delay_alu instid0(VALU_DEP_2) | instskip(NEXT) | instid1(VALU_DEP_1)
	v_lshlrev_b64_e32 v[0:1], 3, v[8:9]
	v_add_nc_u64_e32 v[6:7], s[2:3], v[0:1]
	s_wait_loadcnt 0x0
	global_store_b64 v2, v[12:13], s[2:3] scale_offset
	s_wait_xcnt 0x0
	s_mov_b32 s2, exec_lo
	v_cmpx_lt_i32_e32 2, v18
	s_cbranch_execz .LBB0_13
; %bb.2:
	v_lshl_add_u64 v[10:11], v[8:9], 3, s[8:9]
	v_sub_nc_u32_e32 v12, v3, v8
	s_mov_b32 s3, 0
	s_delay_alu instid0(VALU_DEP_2) | instskip(NEXT) | instid1(VALU_DEP_2)
	v_add_nc_u64_e32 v[2:3], 16, v[10:11]
	v_dual_mov_b32 v10, 0 :: v_dual_add_nc_u32 v19, -2, v12
	s_branch .LBB0_4
.LBB0_3:                                ;   in Loop: Header=BB0_4 Depth=1
	s_wait_xcnt 0x0
	s_or_b32 exec_lo, exec_lo, s5
	v_add_nc_u32_e32 v19, -1, v19
	v_add_nc_u64_e32 v[2:3], 8, v[2:3]
	s_delay_alu instid0(VALU_DEP_2) | instskip(SKIP_1) | instid1(SALU_CYCLE_1)
	v_cmp_eq_u32_e32 vcc_lo, 0, v19
	s_or_b32 s3, vcc_lo, s3
	s_and_not1_b32 exec_lo, exec_lo, s3
	s_cbranch_execz .LBB0_12
.LBB0_4:                                ; =>This Inner Loop Header: Depth=1
	s_delay_alu instid0(VALU_DEP_1) | instskip(SKIP_2) | instid1(VALU_DEP_1)
	v_ashrrev_i32_e32 v11, 31, v10
	s_mov_b32 s4, 0
	s_mov_b32 s5, exec_lo
	v_lshl_add_u64 v[12:13], v[10:11], 3, v[6:7]
	global_load_b64 v[14:15], v[2:3], off offset:-8
	global_load_b64 v[16:17], v[12:13], off
	s_wait_loadcnt 0x0
	v_cmp_ngt_f64_e64 s6, v[14:15], v[16:17]
	s_wait_xcnt 0x0
	v_cmpx_gt_f64_e32 v[14:15], v[16:17]
	s_cbranch_execnz .LBB0_7
; %bb.5:                                ;   in Loop: Header=BB0_4 Depth=1
	s_or_b32 exec_lo, exec_lo, s5
	s_and_saveexec_b32 s5, s6
	s_cbranch_execnz .LBB0_8
.LBB0_6:                                ;   in Loop: Header=BB0_4 Depth=1
	s_or_b32 exec_lo, exec_lo, s5
	s_and_saveexec_b32 s5, s4
	s_cbranch_execz .LBB0_3
	s_branch .LBB0_11
.LBB0_7:                                ;   in Loop: Header=BB0_4 Depth=1
	global_load_b64 v[20:21], v[2:3], off
	s_and_not1_b32 s6, s6, exec_lo
	s_mov_b32 s4, exec_lo
	s_wait_loadcnt 0x0
	v_cmp_ngt_f64_e32 vcc_lo, v[14:15], v[20:21]
	s_and_b32 s7, vcc_lo, exec_lo
	s_delay_alu instid0(SALU_CYCLE_1)
	s_or_b32 s6, s6, s7
	s_wait_xcnt 0x0
	s_or_b32 exec_lo, exec_lo, s5
	s_and_saveexec_b32 s5, s6
	s_cbranch_execz .LBB0_6
.LBB0_8:                                ;   in Loop: Header=BB0_4 Depth=1
	s_mov_b32 s6, 0
	s_mov_b32 s7, exec_lo
	v_cmpx_lt_f64_e32 v[14:15], v[16:17]
	s_cbranch_execz .LBB0_10
; %bb.9:                                ;   in Loop: Header=BB0_4 Depth=1
	global_load_b64 v[16:17], v[2:3], off
	s_wait_loadcnt 0x0
	v_cmp_lt_f64_e32 vcc_lo, v[14:15], v[16:17]
	s_and_b32 s6, vcc_lo, exec_lo
.LBB0_10:                               ;   in Loop: Header=BB0_4 Depth=1
	s_wait_xcnt 0x0
	s_or_b32 exec_lo, exec_lo, s7
	s_delay_alu instid0(SALU_CYCLE_1) | instskip(SKIP_1) | instid1(SALU_CYCLE_1)
	s_and_not1_b32 s4, s4, exec_lo
	s_and_b32 s6, s6, exec_lo
	s_or_b32 s4, s4, s6
	s_or_b32 exec_lo, exec_lo, s5
	s_and_saveexec_b32 s5, s4
	s_cbranch_execz .LBB0_3
.LBB0_11:                               ;   in Loop: Header=BB0_4 Depth=1
	v_add_nc_u32_e32 v10, 1, v10
	global_store_b64 v[12:13], v[14:15], off offset:8
	s_branch .LBB0_3
.LBB0_12:
	s_or_b32 exec_lo, exec_lo, s3
.LBB0_13:
	s_delay_alu instid0(SALU_CYCLE_1)
	s_or_b32 exec_lo, exec_lo, s2
	v_dual_add_nc_u32 v2, -1, v18 :: v_dual_mov_b32 v12, -1
	v_add_nc_u64_e32 v[0:1], s[8:9], v[0:1]
	s_clause 0x1
	s_load_b128 s[4:7], s[0:1], 0x18
	s_load_b64 s[2:3], s[0:1], 0x28
	v_ashrrev_i32_e32 v11, 31, v10
	v_dual_mov_b32 v14, -1 :: v_dual_ashrrev_i32 v3, 31, v2
	s_wait_xcnt 0x0
	s_mov_b32 s0, exec_lo
	s_delay_alu instid0(VALU_DEP_1)
	v_lshl_add_u64 v[0:1], v[2:3], 3, v[0:1]
	v_lshl_add_u64 v[2:3], v[10:11], 3, v[6:7]
	global_load_b64 v[0:1], v[0:1], off
	s_wait_kmcnt 0x0
	v_lshl_add_u64 v[16:17], v[8:9], 2, s[4:5]
	s_wait_loadcnt 0x0
	global_store_b64 v[2:3], v[0:1], off offset:8
	s_wait_xcnt 0x0
	v_cmpx_lt_i32_e32 -2, v10
	s_cbranch_execz .LBB0_27
; %bb.14:
	v_mad_nc_i64_i32 v[0:1], v8, 24, s[6:7]
	v_dual_mov_b32 v12, -1 :: v_dual_mov_b32 v13, 0
	s_mov_b32 s1, 0
	s_mov_b32 s4, -1
	s_delay_alu instid0(VALU_DEP_1) | instskip(NEXT) | instid1(VALU_DEP_3)
	v_mov_b32_e32 v14, v12
	v_add_nc_u64_e32 v[18:19], 24, v[0:1]
	s_branch .LBB0_17
.LBB0_15:                               ;   in Loop: Header=BB0_17 Depth=1
	s_or_b32 exec_lo, exec_lo, s9
.LBB0_16:                               ;   in Loop: Header=BB0_17 Depth=1
	s_delay_alu instid0(SALU_CYCLE_1) | instskip(SKIP_3) | instid1(SALU_CYCLE_1)
	s_or_b32 exec_lo, exec_lo, s8
	v_cmp_eq_u32_e32 vcc_lo, s4, v10
	s_mov_b32 s4, s5
	s_or_b32 s1, vcc_lo, s1
	s_and_not1_b32 exec_lo, exec_lo, s1
	s_cbranch_execz .LBB0_26
.LBB0_17:                               ; =>This Loop Header: Depth=1
                                        ;     Child Loop BB0_21 Depth 2
	s_add_co_i32 s5, s4, 1
	v_mov_b32_e32 v0, v12
	s_mov_b32 s8, exec_lo
	s_delay_alu instid0(VALU_DEP_1) | instskip(NEXT) | instid1(VALU_DEP_1)
	v_ashrrev_i32_e32 v1, 31, v0
	v_lshl_add_u64 v[2:3], v[0:1], 2, v[16:17]
	v_dual_mov_b32 v1, s5 :: v_dual_add_nc_u32 v12, 1, v0
	global_store_b32 v[2:3], v1, off offset:4
	s_wait_xcnt 0x0
	v_cmpx_lt_i32_e32 0, v0
	s_cbranch_execz .LBB0_16
; %bb.18:                               ;   in Loop: Header=BB0_17 Depth=1
	v_mad_nc_i64_i32 v[20:21], v14, 24, v[18:19]
	s_mov_b32 s9, 0
                                        ; implicit-def: $sgpr10
	s_branch .LBB0_21
.LBB0_19:                               ;   in Loop: Header=BB0_21 Depth=2
	s_wait_xcnt 0x0
	s_or_b32 exec_lo, exec_lo, s12
	v_dual_add_f64 v[24:25], v[24:25], v[26:27] :: v_dual_mov_b32 v12, v22
	v_and_b32_e32 v3, 0x7fffffff, v3
	v_cmp_gt_i32_e32 vcc_lo, 2, v22
	s_and_not1_b32 s10, s10, exec_lo
	v_add_nc_u32_e32 v14, 1, v14
	s_and_b32 s12, vcc_lo, exec_lo
	s_delay_alu instid0(SALU_CYCLE_1) | instskip(NEXT) | instid1(VALU_DEP_4)
	s_or_b32 s10, s10, s12
	v_mul_f64_e32 v[24:25], 0.5, v[24:25]
	s_clause 0x1
	global_store_b128 v[20:21], v[0:3], off
	global_store_b64 v[20:21], v[24:25], off offset:16
	s_wait_xcnt 0x0
	v_add_nc_u64_e32 v[20:21], 24, v[20:21]
.LBB0_20:                               ;   in Loop: Header=BB0_21 Depth=2
	s_or_b32 exec_lo, exec_lo, s11
	s_delay_alu instid0(SALU_CYCLE_1) | instskip(NEXT) | instid1(SALU_CYCLE_1)
	s_and_b32 s11, exec_lo, s10
	s_or_b32 s9, s11, s9
	s_delay_alu instid0(SALU_CYCLE_1)
	s_and_not1_b32 exec_lo, exec_lo, s9
	s_cbranch_execz .LBB0_15
.LBB0_21:                               ;   Parent Loop BB0_17 Depth=1
                                        ; =>  This Inner Loop Header: Depth=2
	v_dual_mov_b32 v23, v13 :: v_dual_add_nc_u32 v22, -2, v12
	v_lshl_add_u64 v[2:3], v[12:13], 2, v[16:17]
	s_or_b32 s10, s10, exec_lo
	s_mov_b32 s11, exec_lo
	s_delay_alu instid0(VALU_DEP_2)
	v_lshl_add_u64 v[0:1], v[22:23], 2, v[16:17]
	s_clause 0x1
	global_load_b64 v[28:29], v[2:3], off offset:-4
	global_load_b32 v24, v[0:1], off
	s_wait_loadcnt 0x1
	s_wait_xcnt 0x1
	v_dual_mov_b32 v2, v28 :: v_dual_ashrrev_i32 v3, 31, v28
	v_dual_mov_b32 v26, v29 :: v_dual_ashrrev_i32 v27, 31, v29
	s_wait_loadcnt 0x0
	v_ashrrev_i32_e32 v25, 31, v24
	s_delay_alu instid0(VALU_DEP_3) | instskip(NEXT) | instid1(VALU_DEP_3)
	v_lshl_add_u64 v[2:3], v[2:3], 3, v[6:7]
	v_lshl_add_u64 v[30:31], v[26:27], 3, v[6:7]
	s_delay_alu instid0(VALU_DEP_3)
	v_lshl_add_u64 v[32:33], v[24:25], 3, v[6:7]
	s_clause 0x2
	global_load_b64 v[24:25], v[2:3], off
	global_load_b64 v[34:35], v[30:31], off
	;; [unrolled: 1-line block ×3, first 2 shown]
	s_wait_loadcnt 0x1
	s_wait_xcnt 0x1
	v_add_f64_e64 v[30:31], v[24:25], -v[34:35]
	s_wait_loadcnt 0x0
	v_add_f64_e64 v[2:3], v[26:27], -v[24:25]
	s_wait_xcnt 0x0
	s_delay_alu instid0(VALU_DEP_1)
	v_cmpx_ge_f64_e64 |v[30:31]|, |v[2:3]|
	s_cbranch_execz .LBB0_20
; %bb.22:                               ;   in Loop: Header=BB0_21 Depth=2
	s_mov_b32 s12, exec_lo
	v_cmpx_ne_u32_e32 2, v12
	s_xor_b32 s12, exec_lo, s12
	s_cbranch_execz .LBB0_24
; %bb.23:                               ;   in Loop: Header=BB0_21 Depth=2
	global_store_b32 v[0:1], v29, off
.LBB0_24:                               ;   in Loop: Header=BB0_21 Depth=2
	s_wait_xcnt 0x0
	s_or_saveexec_b32 s12, s12
	v_mov_b64_e32 v[0:1], 1.0
	s_xor_b32 exec_lo, exec_lo, s12
	s_cbranch_execz .LBB0_19
; %bb.25:                               ;   in Loop: Header=BB0_21 Depth=2
	global_load_b64 v[28:29], v[16:17], off offset:4
	v_mov_b64_e32 v[0:1], 0.5
	v_mov_b32_e32 v22, 1
	s_wait_loadcnt 0x0
	global_store_b64 v[16:17], v[28:29], off
	s_branch .LBB0_19
.LBB0_26:
	s_or_b32 exec_lo, exec_lo, s1
.LBB0_27:
	s_delay_alu instid0(SALU_CYCLE_1)
	s_or_b32 exec_lo, exec_lo, s0
	s_mov_b32 s1, 0
	s_mov_b32 s0, exec_lo
	v_cmpx_lt_i32_e32 0, v12
	s_cbranch_execz .LBB0_31
; %bb.28:
	global_load_b32 v0, v[16:17], off
	v_add_nc_u64_e32 v[10:11], 4, v[16:17]
	s_wait_loadcnt 0x0
	v_dual_ashrrev_i32 v15, 31, v14 :: v_dual_ashrrev_i32 v1, 31, v0
	s_delay_alu instid0(VALU_DEP_1) | instskip(SKIP_4) | instid1(VALU_DEP_2)
	v_lshl_add_u64 v[0:1], v[0:1], 3, v[6:7]
	global_load_b64 v[2:3], v[0:1], off
	s_wait_xcnt 0x0
	v_mul_u64_e32 v[0:1], 24, v[14:15]
	v_add_nc_u32_e32 v14, v12, v14
	v_mad_nc_i64_i32 v[0:1], v8, 24, v[0:1]
	s_delay_alu instid0(VALU_DEP_1) | instskip(NEXT) | instid1(VALU_DEP_1)
	v_add_nc_u64_e32 v[0:1], s[6:7], v[0:1]
	v_add_nc_u64_e32 v[8:9], 24, v[0:1]
	v_dual_mov_b32 v0, 0 :: v_dual_mov_b32 v1, 0x3fe00000
.LBB0_29:                               ; =>This Inner Loop Header: Depth=1
	global_load_b32 v16, v[10:11], off
	v_add_nc_u32_e32 v12, -1, v12
	s_wait_xcnt 0x0
	v_add_nc_u64_e32 v[10:11], 4, v[10:11]
	s_delay_alu instid0(VALU_DEP_2) | instskip(SKIP_3) | instid1(VALU_DEP_1)
	v_cmp_eq_u32_e32 vcc_lo, 0, v12
	s_or_b32 s1, vcc_lo, s1
	s_wait_loadcnt 0x0
	v_ashrrev_i32_e32 v17, 31, v16
	v_lshl_add_u64 v[16:17], v[16:17], 3, v[6:7]
	global_load_b64 v[16:17], v[16:17], off
	s_wait_loadcnt 0x0
	v_add_f64_e32 v[18:19], v[2:3], v[16:17]
	v_add_f64_e64 v[2:3], v[2:3], -v[16:17]
	s_delay_alu instid0(VALU_DEP_2) | instskip(NEXT) | instid1(VALU_DEP_2)
	v_mul_f64_e32 v[18:19], 0.5, v[18:19]
	v_and_b32_e32 v3, 0x7fffffff, v3
	s_clause 0x1
	global_store_b128 v[8:9], v[0:3], off
	global_store_b64 v[8:9], v[18:19], off offset:16
	s_wait_xcnt 0x0
	v_add_nc_u64_e32 v[8:9], 24, v[8:9]
	v_mov_b64_e32 v[2:3], v[16:17]
	s_and_not1_b32 exec_lo, exec_lo, s1
	s_cbranch_execnz .LBB0_29
; %bb.30:
	s_or_b32 exec_lo, exec_lo, s1
.LBB0_31:
	s_delay_alu instid0(SALU_CYCLE_1)
	s_or_b32 exec_lo, exec_lo, s0
	v_lshl_add_u64 v[0:1], v[4:5], 2, s[2:3]
	v_add_nc_u32_e32 v2, 1, v14
	global_store_b32 v[0:1], v2, off
.LBB0_32:
	s_endpgm
	.section	.rodata,"a",@progbits
	.p2align	6, 0x0
	.amdhsa_kernel _Z14rainflow_countPKdPKiPdPiP15HIP_vector_typeIdLj3EES4_i
		.amdhsa_group_segment_fixed_size 0
		.amdhsa_private_segment_fixed_size 0
		.amdhsa_kernarg_size 312
		.amdhsa_user_sgpr_count 2
		.amdhsa_user_sgpr_dispatch_ptr 0
		.amdhsa_user_sgpr_queue_ptr 0
		.amdhsa_user_sgpr_kernarg_segment_ptr 1
		.amdhsa_user_sgpr_dispatch_id 0
		.amdhsa_user_sgpr_kernarg_preload_length 0
		.amdhsa_user_sgpr_kernarg_preload_offset 0
		.amdhsa_user_sgpr_private_segment_size 0
		.amdhsa_wavefront_size32 1
		.amdhsa_uses_dynamic_stack 0
		.amdhsa_enable_private_segment 0
		.amdhsa_system_sgpr_workgroup_id_x 1
		.amdhsa_system_sgpr_workgroup_id_y 0
		.amdhsa_system_sgpr_workgroup_id_z 0
		.amdhsa_system_sgpr_workgroup_info 0
		.amdhsa_system_vgpr_workitem_id 0
		.amdhsa_next_free_vgpr 36
		.amdhsa_next_free_sgpr 13
		.amdhsa_named_barrier_count 0
		.amdhsa_reserve_vcc 1
		.amdhsa_float_round_mode_32 0
		.amdhsa_float_round_mode_16_64 0
		.amdhsa_float_denorm_mode_32 3
		.amdhsa_float_denorm_mode_16_64 3
		.amdhsa_fp16_overflow 0
		.amdhsa_memory_ordered 1
		.amdhsa_forward_progress 1
		.amdhsa_inst_pref_size 13
		.amdhsa_round_robin_scheduling 0
		.amdhsa_exception_fp_ieee_invalid_op 0
		.amdhsa_exception_fp_denorm_src 0
		.amdhsa_exception_fp_ieee_div_zero 0
		.amdhsa_exception_fp_ieee_overflow 0
		.amdhsa_exception_fp_ieee_underflow 0
		.amdhsa_exception_fp_ieee_inexact 0
		.amdhsa_exception_int_div_zero 0
	.end_amdhsa_kernel
	.text
.Lfunc_end0:
	.size	_Z14rainflow_countPKdPKiPdPiP15HIP_vector_typeIdLj3EES4_i, .Lfunc_end0-_Z14rainflow_countPKdPKiPdPiP15HIP_vector_typeIdLj3EES4_i
                                        ; -- End function
	.set _Z14rainflow_countPKdPKiPdPiP15HIP_vector_typeIdLj3EES4_i.num_vgpr, 36
	.set _Z14rainflow_countPKdPKiPdPiP15HIP_vector_typeIdLj3EES4_i.num_agpr, 0
	.set _Z14rainflow_countPKdPKiPdPiP15HIP_vector_typeIdLj3EES4_i.numbered_sgpr, 13
	.set _Z14rainflow_countPKdPKiPdPiP15HIP_vector_typeIdLj3EES4_i.num_named_barrier, 0
	.set _Z14rainflow_countPKdPKiPdPiP15HIP_vector_typeIdLj3EES4_i.private_seg_size, 0
	.set _Z14rainflow_countPKdPKiPdPiP15HIP_vector_typeIdLj3EES4_i.uses_vcc, 1
	.set _Z14rainflow_countPKdPKiPdPiP15HIP_vector_typeIdLj3EES4_i.uses_flat_scratch, 0
	.set _Z14rainflow_countPKdPKiPdPiP15HIP_vector_typeIdLj3EES4_i.has_dyn_sized_stack, 0
	.set _Z14rainflow_countPKdPKiPdPiP15HIP_vector_typeIdLj3EES4_i.has_recursion, 0
	.set _Z14rainflow_countPKdPKiPdPiP15HIP_vector_typeIdLj3EES4_i.has_indirect_call, 0
	.section	.AMDGPU.csdata,"",@progbits
; Kernel info:
; codeLenInByte = 1576
; TotalNumSgprs: 15
; NumVgprs: 36
; ScratchSize: 0
; MemoryBound: 1
; FloatMode: 240
; IeeeMode: 1
; LDSByteSize: 0 bytes/workgroup (compile time only)
; SGPRBlocks: 0
; VGPRBlocks: 2
; NumSGPRsForWavesPerEU: 15
; NumVGPRsForWavesPerEU: 36
; NamedBarCnt: 0
; Occupancy: 16
; WaveLimiterHint : 1
; COMPUTE_PGM_RSRC2:SCRATCH_EN: 0
; COMPUTE_PGM_RSRC2:USER_SGPR: 2
; COMPUTE_PGM_RSRC2:TRAP_HANDLER: 0
; COMPUTE_PGM_RSRC2:TGID_X_EN: 1
; COMPUTE_PGM_RSRC2:TGID_Y_EN: 0
; COMPUTE_PGM_RSRC2:TGID_Z_EN: 0
; COMPUTE_PGM_RSRC2:TIDIG_COMP_CNT: 0
	.text
	.p2alignl 7, 3214868480
	.fill 96, 4, 3214868480
	.section	.AMDGPU.gpr_maximums,"",@progbits
	.set amdgpu.max_num_vgpr, 0
	.set amdgpu.max_num_agpr, 0
	.set amdgpu.max_num_sgpr, 0
	.text
	.type	__hip_cuid_7c53ef12acac50a3,@object ; @__hip_cuid_7c53ef12acac50a3
	.section	.bss,"aw",@nobits
	.globl	__hip_cuid_7c53ef12acac50a3
__hip_cuid_7c53ef12acac50a3:
	.byte	0                               ; 0x0
	.size	__hip_cuid_7c53ef12acac50a3, 1

	.ident	"AMD clang version 22.0.0git (https://github.com/RadeonOpenCompute/llvm-project roc-7.2.4 26084 f58b06dce1f9c15707c5f808fd002e18c2accf7e)"
	.section	".note.GNU-stack","",@progbits
	.addrsig
	.addrsig_sym __hip_cuid_7c53ef12acac50a3
	.amdgpu_metadata
---
amdhsa.kernels:
  - .args:
      - .actual_access:  read_only
        .address_space:  global
        .offset:         0
        .size:           8
        .value_kind:     global_buffer
      - .actual_access:  read_only
        .address_space:  global
        .offset:         8
        .size:           8
        .value_kind:     global_buffer
      - .address_space:  global
        .offset:         16
        .size:           8
        .value_kind:     global_buffer
      - .address_space:  global
        .offset:         24
        .size:           8
        .value_kind:     global_buffer
      - .actual_access:  write_only
        .address_space:  global
        .offset:         32
        .size:           8
        .value_kind:     global_buffer
      - .actual_access:  write_only
        .address_space:  global
        .offset:         40
        .size:           8
        .value_kind:     global_buffer
      - .offset:         48
        .size:           4
        .value_kind:     by_value
      - .offset:         56
        .size:           4
        .value_kind:     hidden_block_count_x
      - .offset:         60
        .size:           4
        .value_kind:     hidden_block_count_y
      - .offset:         64
        .size:           4
        .value_kind:     hidden_block_count_z
      - .offset:         68
        .size:           2
        .value_kind:     hidden_group_size_x
      - .offset:         70
        .size:           2
        .value_kind:     hidden_group_size_y
      - .offset:         72
        .size:           2
        .value_kind:     hidden_group_size_z
      - .offset:         74
        .size:           2
        .value_kind:     hidden_remainder_x
      - .offset:         76
        .size:           2
        .value_kind:     hidden_remainder_y
      - .offset:         78
        .size:           2
        .value_kind:     hidden_remainder_z
      - .offset:         96
        .size:           8
        .value_kind:     hidden_global_offset_x
      - .offset:         104
        .size:           8
        .value_kind:     hidden_global_offset_y
      - .offset:         112
        .size:           8
        .value_kind:     hidden_global_offset_z
      - .offset:         120
        .size:           2
        .value_kind:     hidden_grid_dims
    .group_segment_fixed_size: 0
    .kernarg_segment_align: 8
    .kernarg_segment_size: 312
    .language:       OpenCL C
    .language_version:
      - 2
      - 0
    .max_flat_workgroup_size: 1024
    .name:           _Z14rainflow_countPKdPKiPdPiP15HIP_vector_typeIdLj3EES4_i
    .private_segment_fixed_size: 0
    .sgpr_count:     15
    .sgpr_spill_count: 0
    .symbol:         _Z14rainflow_countPKdPKiPdPiP15HIP_vector_typeIdLj3EES4_i.kd
    .uniform_work_group_size: 1
    .uses_dynamic_stack: false
    .vgpr_count:     36
    .vgpr_spill_count: 0
    .wavefront_size: 32
amdhsa.target:   amdgcn-amd-amdhsa--gfx1250
amdhsa.version:
  - 1
  - 2
...

	.end_amdgpu_metadata
